;; amdgpu-corpus repo=zjin-lcf/HeCBench kind=compiled arch=gfx90a opt=O3
	.text
	.amdgcn_target "amdgcn-amd-amdhsa--gfx90a"
	.amdhsa_code_object_version 6
	.protected	_Z17StringSearchNaivePKhjS0_jPjS1_j ; -- Begin function _Z17StringSearchNaivePKhjS0_jPjS1_j
	.globl	_Z17StringSearchNaivePKhjS0_jPjS1_j
	.p2align	8
	.type	_Z17StringSearchNaivePKhjS0_jPjS1_j,@function
_Z17StringSearchNaivePKhjS0_jPjS1_j:    ; @_Z17StringSearchNaivePKhjS0_jPjS1_j
; %bb.0:
	s_load_dword s0, s[4:5], 0x8
	s_load_dword s7, s[4:5], 0x18
	;; [unrolled: 1-line block ×3, first 2 shown]
	s_waitcnt lgkmcnt(0)
	s_sub_i32 s9, s0, s7
	s_add_i32 s9, s9, 1
	s_mul_i32 s22, s6, s8
	s_cmp_gt_u32 s22, s9
	s_cbranch_scc1 .LBB0_24
; %bb.1:
	s_load_dword s0, s[4:5], 0x44
	v_cmp_gt_u32_e32 vcc, s7, v0
	s_waitcnt lgkmcnt(0)
	s_and_b32 s23, s0, 0xffff
	s_and_saveexec_b64 s[0:1], vcc
	s_cbranch_execz .LBB0_4
; %bb.2:
	s_load_dwordx2 s[2:3], s[4:5], 0x10
	s_mov_b32 s10, 0
	v_mov_b32_e32 v4, 26
	v_mov_b32_e32 v5, v0
	s_waitcnt lgkmcnt(0)
	v_mov_b32_e32 v1, s3
	v_add_co_u32_e32 v2, vcc, s2, v0
	v_addc_co_u32_e32 v3, vcc, 0, v1, vcc
	s_mov_b64 s[2:3], 0
	v_mov_b32_e32 v1, s10
.LBB0_3:                                ; =>This Inner Loop Header: Depth=1
	global_load_ubyte v6, v[2:3], off
	v_add_co_u32_e32 v2, vcc, s23, v2
	v_add_u32_e32 v7, 4, v5
	v_add_u32_e32 v5, s23, v5
	v_addc_co_u32_e32 v3, vcc, v3, v1, vcc
	v_cmp_le_u32_e32 vcc, s7, v5
	s_or_b64 s[2:3], vcc, s[2:3]
	s_waitcnt vmcnt(0)
	v_add_u16_e32 v8, 0xffbf, v6
	v_add_u16_e32 v9, 32, v6
	v_cmp_lt_u16_sdwa vcc, v8, v4 src0_sel:BYTE_0 src1_sel:DWORD
	v_cndmask_b32_e32 v6, v6, v9, vcc
	ds_write_b8 v7, v6
	s_andn2_b64 exec, exec, s[2:3]
	s_cbranch_execnz .LBB0_3
.LBB0_4:
	s_or_b64 exec, exec, s[0:1]
	v_cmp_eq_u32_e64 s[0:1], 0, v0
	s_and_saveexec_b64 s[2:3], s[0:1]
	s_cbranch_execz .LBB0_6
; %bb.5:
	v_mov_b32_e32 v1, 0
	ds_write_b32 v1, v1
.LBB0_6:
	s_or_b64 exec, exec, s[2:3]
	s_add_i32 s2, s22, s8
	s_min_u32 s24, s2, s9
	s_load_dwordx4 s[8:11], s[4:5], 0x20
	v_add_u32_e32 v4, s22, v0
	v_cmp_gt_u32_e32 vcc, s24, v4
	s_waitcnt lgkmcnt(0)
	s_barrier
	s_and_saveexec_b64 s[12:13], vcc
	s_cbranch_execz .LBB0_22
; %bb.7:
	s_load_dwordx2 s[4:5], s[4:5], 0x0
	s_cmp_lg_u32 s7, 0
	s_cselect_b64 s[2:3], -1, 0
	v_cndmask_b32_e64 v0, 0, 1, s[2:3]
	s_mov_b64 s[14:15], 0
	s_waitcnt lgkmcnt(0)
	s_add_u32 s25, s4, 1
	s_addc_u32 s26, s5, 0
	v_mov_b32_e32 v1, 0
	v_cmp_ne_u32_e64 s[2:3], 1, v0
	v_mov_b32_e32 v5, 26
	v_mov_b32_e32 v6, 4
	s_branch .LBB0_10
.LBB0_8:                                ;   in Loop: Header=BB0_10 Depth=1
	s_or_b64 exec, exec, s[18:19]
	s_waitcnt lgkmcnt(0)
	v_readfirstlane_b32 s18, v2
	s_add_i32 s18, s22, s18
	v_add_u32_e32 v0, s18, v0
	v_lshlrev_b64 v[2:3], 2, v[0:1]
	v_mov_b32_e32 v0, s9
	v_add_co_u32_e32 v2, vcc, s8, v2
	v_addc_co_u32_e32 v3, vcc, v0, v3, vcc
	global_store_dword v[2:3], v4, off
.LBB0_9:                                ;   in Loop: Header=BB0_10 Depth=1
	s_or_b64 exec, exec, s[16:17]
	v_add_u32_e32 v4, s23, v4
	v_cmp_le_u32_e32 vcc, s24, v4
	s_or_b64 s[14:15], vcc, s[14:15]
	s_andn2_b64 exec, exec, s[14:15]
	s_cbranch_execz .LBB0_22
.LBB0_10:                               ; =>This Loop Header: Depth=1
                                        ;     Child Loop BB0_15 Depth 2
	s_and_b64 vcc, exec, s[2:3]
	v_mov_b32_e32 v0, 1
	s_cbranch_vccnz .LBB0_19
; %bb.11:                               ;   in Loop: Header=BB0_10 Depth=1
	global_load_ubyte v0, v4, s[4:5]
	ds_read_u8 v2, v6
	s_mov_b64 s[18:19], 0
	s_waitcnt vmcnt(0)
	v_add_u16_e32 v3, 0xffbf, v0
	v_add_u16_e32 v7, 32, v0
	v_cmp_lt_u16_sdwa vcc, v3, v5 src0_sel:BYTE_0 src1_sel:DWORD
	v_cndmask_b32_e32 v0, v0, v7, vcc
	s_waitcnt lgkmcnt(0)
	v_cmp_eq_u16_sdwa s[20:21], v0, v2 src0_sel:BYTE_0 src1_sel:DWORD
	s_and_saveexec_b64 s[16:17], s[20:21]
	s_cbranch_execz .LBB0_18
; %bb.12:                               ;   in Loop: Header=BB0_10 Depth=1
	v_mov_b32_e32 v0, s26
	v_add_co_u32_e32 v2, vcc, s25, v4
	v_addc_co_u32_e32 v3, vcc, 0, v0, vcc
	s_mov_b32 s27, 1
                                        ; implicit-def: $sgpr20_sgpr21
	s_branch .LBB0_15
.LBB0_13:                               ;   in Loop: Header=BB0_15 Depth=2
	global_load_ubyte v0, v[2:3], off
	s_add_i32 s29, s27, 4
	v_mov_b32_e32 v7, s29
	ds_read_u8 v7, v7
	v_add_co_u32_e32 v2, vcc, 1, v2
	v_addc_co_u32_e32 v3, vcc, 0, v3, vcc
	s_andn2_b64 s[20:21], s[20:21], exec
	s_add_i32 s28, s27, 1
	s_waitcnt vmcnt(0)
	v_add_u16_e32 v8, 0xffbf, v0
	v_add_u16_e32 v9, 32, v0
	v_cmp_lt_u16_sdwa vcc, v8, v5 src0_sel:BYTE_0 src1_sel:DWORD
	v_cndmask_b32_e32 v0, v0, v9, vcc
	s_waitcnt lgkmcnt(0)
	v_cmp_ne_u16_sdwa s[30:31], v0, v7 src0_sel:BYTE_0 src1_sel:DWORD
	s_and_b64 s[30:31], s[30:31], exec
	s_or_b64 s[20:21], s[20:21], s[30:31]
.LBB0_14:                               ;   in Loop: Header=BB0_15 Depth=2
	s_and_b64 s[30:31], exec, s[20:21]
	s_or_b64 s[18:19], s[30:31], s[18:19]
	v_mov_b32_e32 v0, s27
	s_mov_b32 s27, s28
	s_andn2_b64 exec, exec, s[18:19]
	s_cbranch_execz .LBB0_17
.LBB0_15:                               ;   Parent Loop BB0_10 Depth=1
                                        ; =>  This Inner Loop Header: Depth=2
	s_or_b64 s[20:21], s[20:21], exec
	s_cmp_eq_u32 s7, s27
	s_cbranch_scc0 .LBB0_13
; %bb.16:                               ;   in Loop: Header=BB0_15 Depth=2
                                        ; implicit-def: $sgpr28
                                        ; implicit-def: $vgpr2_vgpr3
	s_mov_b32 s27, s7
	s_branch .LBB0_14
.LBB0_17:                               ;   in Loop: Header=BB0_10 Depth=1
	s_or_b64 exec, exec, s[18:19]
	v_cmp_le_u32_e32 vcc, s7, v0
	s_and_b64 s[18:19], vcc, exec
.LBB0_18:                               ;   in Loop: Header=BB0_10 Depth=1
	s_or_b64 exec, exec, s[16:17]
	v_cndmask_b32_e64 v0, 0, 1, s[18:19]
.LBB0_19:                               ;   in Loop: Header=BB0_10 Depth=1
	v_cmp_ne_u32_e32 vcc, 0, v0
	s_and_saveexec_b64 s[16:17], vcc
	s_cbranch_execz .LBB0_9
; %bb.20:                               ;   in Loop: Header=BB0_10 Depth=1
	s_mov_b64 s[20:21], exec
	v_mbcnt_lo_u32_b32 v0, s20, 0
	v_mbcnt_hi_u32_b32 v0, s21, v0
	v_cmp_eq_u32_e32 vcc, 0, v0
                                        ; implicit-def: $vgpr2
	s_and_saveexec_b64 s[18:19], vcc
	s_cbranch_execz .LBB0_8
; %bb.21:                               ;   in Loop: Header=BB0_10 Depth=1
	s_bcnt1_i32_b64 s20, s[20:21]
	v_mov_b32_e32 v2, s20
	ds_add_rtn_u32 v2, v1, v2
	s_branch .LBB0_8
.LBB0_22:
	s_or_b64 exec, exec, s[12:13]
	s_barrier
	s_and_saveexec_b64 s[2:3], s[0:1]
	s_cbranch_execz .LBB0_24
; %bb.23:
	v_mov_b32_e32 v0, 0
	ds_read_b32 v1, v0
	s_ashr_i32 s7, s6, 31
	s_lshl_b64 s[0:1], s[6:7], 2
	s_add_u32 s0, s10, s0
	s_addc_u32 s1, s11, s1
	s_waitcnt lgkmcnt(0)
	global_store_dword v0, v1, s[0:1]
.LBB0_24:
	s_endpgm
	.section	.rodata,"a",@progbits
	.p2align	6, 0x0
	.amdhsa_kernel _Z17StringSearchNaivePKhjS0_jPjS1_j
		.amdhsa_group_segment_fixed_size 4
		.amdhsa_private_segment_fixed_size 0
		.amdhsa_kernarg_size 312
		.amdhsa_user_sgpr_count 6
		.amdhsa_user_sgpr_private_segment_buffer 1
		.amdhsa_user_sgpr_dispatch_ptr 0
		.amdhsa_user_sgpr_queue_ptr 0
		.amdhsa_user_sgpr_kernarg_segment_ptr 1
		.amdhsa_user_sgpr_dispatch_id 0
		.amdhsa_user_sgpr_flat_scratch_init 0
		.amdhsa_user_sgpr_kernarg_preload_length 0
		.amdhsa_user_sgpr_kernarg_preload_offset 0
		.amdhsa_user_sgpr_private_segment_size 0
		.amdhsa_uses_dynamic_stack 0
		.amdhsa_system_sgpr_private_segment_wavefront_offset 0
		.amdhsa_system_sgpr_workgroup_id_x 1
		.amdhsa_system_sgpr_workgroup_id_y 0
		.amdhsa_system_sgpr_workgroup_id_z 0
		.amdhsa_system_sgpr_workgroup_info 0
		.amdhsa_system_vgpr_workitem_id 0
		.amdhsa_next_free_vgpr 10
		.amdhsa_next_free_sgpr 32
		.amdhsa_accum_offset 12
		.amdhsa_reserve_vcc 1
		.amdhsa_reserve_flat_scratch 0
		.amdhsa_float_round_mode_32 0
		.amdhsa_float_round_mode_16_64 0
		.amdhsa_float_denorm_mode_32 3
		.amdhsa_float_denorm_mode_16_64 3
		.amdhsa_dx10_clamp 1
		.amdhsa_ieee_mode 1
		.amdhsa_fp16_overflow 0
		.amdhsa_tg_split 0
		.amdhsa_exception_fp_ieee_invalid_op 0
		.amdhsa_exception_fp_denorm_src 0
		.amdhsa_exception_fp_ieee_div_zero 0
		.amdhsa_exception_fp_ieee_overflow 0
		.amdhsa_exception_fp_ieee_underflow 0
		.amdhsa_exception_fp_ieee_inexact 0
		.amdhsa_exception_int_div_zero 0
	.end_amdhsa_kernel
	.text
.Lfunc_end0:
	.size	_Z17StringSearchNaivePKhjS0_jPjS1_j, .Lfunc_end0-_Z17StringSearchNaivePKhjS0_jPjS1_j
                                        ; -- End function
	.section	.AMDGPU.csdata,"",@progbits
; Kernel info:
; codeLenInByte = 792
; NumSgprs: 36
; NumVgprs: 10
; NumAgprs: 0
; TotalNumVgprs: 10
; ScratchSize: 0
; MemoryBound: 0
; FloatMode: 240
; IeeeMode: 1
; LDSByteSize: 4 bytes/workgroup (compile time only)
; SGPRBlocks: 4
; VGPRBlocks: 1
; NumSGPRsForWavesPerEU: 36
; NumVGPRsForWavesPerEU: 10
; AccumOffset: 12
; Occupancy: 8
; WaveLimiterHint : 0
; COMPUTE_PGM_RSRC2:SCRATCH_EN: 0
; COMPUTE_PGM_RSRC2:USER_SGPR: 6
; COMPUTE_PGM_RSRC2:TRAP_HANDLER: 0
; COMPUTE_PGM_RSRC2:TGID_X_EN: 1
; COMPUTE_PGM_RSRC2:TGID_Y_EN: 0
; COMPUTE_PGM_RSRC2:TGID_Z_EN: 0
; COMPUTE_PGM_RSRC2:TIDIG_COMP_CNT: 0
; COMPUTE_PGM_RSRC3_GFX90A:ACCUM_OFFSET: 2
; COMPUTE_PGM_RSRC3_GFX90A:TG_SPLIT: 0
	.text
	.protected	_Z23StringSearchLoadBalancePKhjS0_jPjS1_j ; -- Begin function _Z23StringSearchLoadBalancePKhjS0_jPjS1_j
	.globl	_Z23StringSearchLoadBalancePKhjS0_jPjS1_j
	.p2align	8
	.type	_Z23StringSearchLoadBalancePKhjS0_jPjS1_j,@function
_Z23StringSearchLoadBalancePKhjS0_jPjS1_j: ; @_Z23StringSearchLoadBalancePKhjS0_jPjS1_j
; %bb.0:
	v_cmp_eq_u32_e64 s[0:1], 0, v0
	s_and_saveexec_b64 s[2:3], s[0:1]
	s_cbranch_execz .LBB1_2
; %bb.1:
	v_mov_b32_e32 v2, 0
	v_mov_b32_e32 v3, v2
	;; [unrolled: 1-line block ×3, first 2 shown]
	ds_write_b96 v2, v[2:4] offset:4096
.LBB1_2:
	s_or_b64 exec, exec, s[2:3]
	s_load_dword s2, s[4:5], 0x8
	s_load_dword s7, s[4:5], 0x18
	;; [unrolled: 1-line block ×3, first 2 shown]
	s_waitcnt lgkmcnt(0)
	s_sub_i32 s13, s2, s7
	s_add_i32 s13, s13, 1
	s_mul_i32 s26, s6, s12
	s_cmp_gt_u32 s26, s13
	s_cbranch_scc1 .LBB1_55
; %bb.3:
	s_load_dword s2, s[4:5], 0x44
	v_cmp_gt_u32_e32 vcc, s7, v0
	s_waitcnt lgkmcnt(0)
	s_and_b32 s27, 0xffff, s2
	s_and_saveexec_b64 s[2:3], vcc
	s_cbranch_execz .LBB1_6
; %bb.4:
	s_load_dwordx2 s[8:9], s[4:5], 0x10
	s_mov_b64 s[10:11], 0
	v_mov_b32_e32 v1, 26
	v_mov_b32_e32 v2, v0
.LBB1_5:                                ; =>This Inner Loop Header: Depth=1
	s_waitcnt lgkmcnt(0)
	global_load_ubyte v3, v2, s[8:9]
	v_add_u32_e32 v4, 0x100c, v2
	v_add_u32_e32 v2, s27, v2
	v_cmp_le_u32_e32 vcc, s7, v2
	s_or_b64 s[10:11], vcc, s[10:11]
	s_waitcnt vmcnt(0)
	v_add_u16_e32 v5, 0xffbf, v3
	v_add_u16_e32 v6, 32, v3
	v_cmp_lt_u16_sdwa vcc, v5, v1 src0_sel:BYTE_0 src1_sel:DWORD
	v_cndmask_b32_e32 v3, v3, v6, vcc
	ds_write_b8 v4, v3
	s_andn2_b64 exec, exec, s[10:11]
	s_cbranch_execnz .LBB1_5
.LBB1_6:
	s_or_b64 exec, exec, s[2:3]
	v_cvt_f32_u32_e32 v2, s27
	s_add_i32 s2, s26, s12
	s_min_u32 s2, s2, s13
	s_load_dwordx2 s[12:13], s[4:5], 0x0
	s_load_dwordx4 s[8:11], s[4:5], 0x20
	v_rcp_iflag_f32_e32 v2, v2
	s_sub_i32 s28, s2, s26
	v_mov_b32_e32 v1, 0x100c
	s_waitcnt lgkmcnt(0)
	s_add_u32 s4, s12, s26
	v_mul_f32_e32 v2, 0x4f7ffffe, v2
	v_cvt_u32_f32_e32 v2, v2
	s_addc_u32 s5, s13, 0
	s_add_i32 s29, s7, -10
	s_cmp_lg_u32 s29, 0
	s_barrier
	ds_read_u8 v6, v1
	ds_read_u8 v7, v1 offset:1
	s_cselect_b64 s[2:3], -1, 0
	s_sub_i32 s14, 0, s27
	v_mul_lo_u32 v3, s14, v2
	v_mul_hi_u32 v3, v2, v3
	v_add_u32_e32 v8, v2, v3
	s_add_u32 s30, s4, 10
	v_cndmask_b32_e64 v2, 0, 1, s[2:3]
	s_addc_u32 s31, s5, 0
	s_mov_b64 s[4:5], 0
	v_mov_b32_e32 v3, 0
	v_mov_b32_e32 v9, 26
	v_cmp_ne_u32_e64 s[2:3], 1, v2
	s_mov_b64 s[14:15], 0
	s_mov_b64 s[16:17], 0
	v_mov_b32_e32 v10, v0
	s_branch .LBB1_9
.LBB1_7:                                ;   in Loop: Header=BB1_9 Depth=1
	s_or_b64 exec, exec, s[16:17]
	s_waitcnt lgkmcnt(0)
	v_readfirstlane_b32 s16, v5
	s_add_i32 s16, s26, s16
	v_add_u32_e32 v11, s26, v2
	v_add_u32_e32 v2, s16, v4
	v_lshlrev_b64 v[4:5], 2, v[2:3]
	v_mov_b32_e32 v2, s9
	v_add_co_u32_e32 v4, vcc, s8, v4
	v_addc_co_u32_e32 v5, vcc, v2, v5, vcc
	global_store_dword v[4:5], v11, off
.LBB1_8:                                ;   in Loop: Header=BB1_9 Depth=1
	s_or_b64 exec, exec, s[14:15]
	v_sub_u32_e32 v4, 0, v10
	v_max_i32_e32 v4, v10, v4
	v_mul_hi_u32 v5, v4, v8
	v_mul_lo_u32 v5, v5, s27
	v_sub_u32_e32 v4, v4, v5
	v_subrev_u32_e32 v5, s27, v4
	v_cmp_le_u32_e32 vcc, s27, v4
	v_cndmask_b32_e32 v4, v4, v5, vcc
	v_subrev_u32_e32 v5, s27, v4
	v_cmp_le_u32_e32 vcc, s27, v4
	s_waitcnt lgkmcnt(0)
	s_barrier
	v_cndmask_b32_e32 v11, v4, v5, vcc
	ds_read_b64 v[4:5], v3 offset:4096
	v_ashrrev_i32_e32 v2, 31, v10
	v_xor_b32_e32 v11, v11, v2
	v_sub_u32_e32 v2, v2, v11
	v_add_u32_e32 v2, v10, v2
	s_waitcnt lgkmcnt(0)
	v_readfirstlane_b32 s14, v4
	v_readfirstlane_b32 s15, v5
	s_or_b32 s14, s14, s15
	s_cmp_eq_u32 s14, 0
	v_cmp_le_u32_e32 vcc, s28, v2
	s_cselect_b64 s[14:15], -1, 0
	s_and_b64 s[14:15], s[14:15], vcc
	s_and_b64 s[14:15], exec, s[14:15]
	s_or_b64 s[4:5], s[14:15], s[4:5]
	s_mov_b64 s[14:15], 0
	s_mov_b64 s[16:17], 0
	s_andn2_b64 exec, exec, s[4:5]
	s_cbranch_execz .LBB1_53
.LBB1_9:                                ; =>This Loop Header: Depth=1
                                        ;     Child Loop BB1_44 Depth 2
	v_cmp_gt_u32_e32 vcc, s28, v10
	s_and_saveexec_b64 s[18:19], vcc
	s_cbranch_execz .LBB1_15
; %bb.10:                               ;   in Loop: Header=BB1_9 Depth=1
	v_add_u32_e32 v2, s26, v10
	global_load_ubyte v4, v2, s[12:13]
	s_waitcnt vmcnt(0)
	v_add_u16_e32 v5, 0xffbf, v4
	v_add_u16_e32 v11, 32, v4
	v_cmp_lt_u16_sdwa vcc, v5, v9 src0_sel:BYTE_0 src1_sel:DWORD
	v_cndmask_b32_e32 v4, v4, v11, vcc
	s_waitcnt lgkmcnt(1)
	v_cmp_eq_u16_sdwa s[20:21], v6, v4 src0_sel:BYTE_0 src1_sel:BYTE_0
	s_and_b64 exec, exec, s[20:21]
	s_cbranch_execz .LBB1_15
; %bb.11:                               ;   in Loop: Header=BB1_9 Depth=1
	v_add_u32_e32 v2, 1, v2
	global_load_ubyte v2, v2, s[12:13]
	s_waitcnt vmcnt(0)
	v_add_u16_e32 v4, 0xffbf, v2
	v_add_u16_e32 v5, 32, v2
	v_cmp_lt_u16_sdwa vcc, v4, v9 src0_sel:BYTE_0 src1_sel:DWORD
	v_cndmask_b32_e32 v2, v2, v5, vcc
	s_waitcnt lgkmcnt(0)
	v_cmp_eq_u16_sdwa s[20:21], v7, v2 src0_sel:BYTE_0 src1_sel:BYTE_0
	s_and_b64 exec, exec, s[20:21]
	s_cbranch_execz .LBB1_15
; %bb.12:                               ;   in Loop: Header=BB1_9 Depth=1
	s_mov_b64 s[22:23], exec
	v_mbcnt_lo_u32_b32 v2, s22, 0
	v_mbcnt_hi_u32_b32 v2, s23, v2
	v_cmp_eq_u32_e32 vcc, 0, v2
                                        ; implicit-def: $vgpr4
	s_and_saveexec_b64 s[20:21], vcc
	s_cbranch_execz .LBB1_14
; %bb.13:                               ;   in Loop: Header=BB1_9 Depth=1
	s_bcnt1_i32_b64 s22, s[22:23]
	v_mov_b32_e32 v4, s22
	ds_add_rtn_u32 v4, v3, v4 offset:4096
.LBB1_14:                               ;   in Loop: Header=BB1_9 Depth=1
	s_or_b64 exec, exec, s[20:21]
	s_waitcnt lgkmcnt(0)
	v_readfirstlane_b32 s20, v4
	v_add_lshl_u32 v2, s20, v2, 2
	ds_write_b32 v2, v10
.LBB1_15:                               ;   in Loop: Header=BB1_9 Depth=1
	s_or_b64 exec, exec, s[18:19]
	s_waitcnt lgkmcnt(0)
	s_barrier
	ds_read_b32 v2, v3 offset:4096
	v_add_u32_e32 v10, s27, v10
	s_waitcnt lgkmcnt(0)
	s_barrier
	v_cmp_le_u32_e32 vcc, s27, v2
	s_cbranch_vccnz .LBB1_17
; %bb.16:                               ;   in Loop: Header=BB1_9 Depth=1
	v_sub_u32_e32 v5, 0, v10
	v_max_i32_e32 v5, v10, v5
	v_mul_hi_u32 v11, v5, v8
	v_mul_lo_u32 v11, v11, s27
	v_sub_u32_e32 v5, v5, v11
	v_subrev_u32_e32 v11, s27, v5
	v_cmp_le_u32_e32 vcc, s27, v5
	v_cndmask_b32_e32 v5, v5, v11, vcc
	v_subrev_u32_e32 v11, s27, v5
	v_cmp_le_u32_e32 vcc, s27, v5
	v_ashrrev_i32_e32 v4, 31, v10
	v_cndmask_b32_e32 v5, v5, v11, vcc
	v_xor_b32_e32 v5, v5, v4
	v_sub_u32_e32 v4, v4, v5
	v_add_u32_e32 v4, v10, v4
	v_cmp_le_u32_e32 vcc, s28, v4
	s_orn2_b64 s[18:19], vcc, exec
	s_and_b64 s[18:19], exec, s[18:19]
	s_or_b64 s[16:17], s[18:19], s[16:17]
	s_andn2_b64 exec, exec, s[16:17]
	s_cbranch_execnz .LBB1_9
	s_branch .LBB1_18
.LBB1_17:                               ;   in Loop: Header=BB1_9 Depth=1
	s_mov_b64 s[18:19], -1
	s_and_b64 s[18:19], exec, s[18:19]
	s_or_b64 s[16:17], s[18:19], s[16:17]
	s_andn2_b64 exec, exec, s[16:17]
	s_cbranch_execnz .LBB1_9
.LBB1_18:                               ;   in Loop: Header=BB1_9 Depth=1
	s_or_b64 exec, exec, s[16:17]
	v_cmp_lt_u32_e32 vcc, v0, v2
	s_and_saveexec_b64 s[16:17], vcc
	s_cbranch_execz .LBB1_32
; %bb.19:                               ;   in Loop: Header=BB1_9 Depth=1
	s_mov_b64 s[20:21], exec
	v_mbcnt_lo_u32_b32 v2, s20, 0
	v_mbcnt_hi_u32_b32 v2, s21, v2
	v_cmp_eq_u32_e32 vcc, 0, v2
                                        ; implicit-def: $vgpr4
	s_and_saveexec_b64 s[18:19], vcc
	s_cbranch_execz .LBB1_21
; %bb.20:                               ;   in Loop: Header=BB1_9 Depth=1
	s_bcnt1_i32_b64 s20, s[20:21]
	s_sub_i32 s20, 0, s20
	v_mov_b32_e32 v4, s20
	ds_add_rtn_u32 v4, v3, v4 offset:4096
.LBB1_21:                               ;   in Loop: Header=BB1_9 Depth=1
	s_or_b64 exec, exec, s[18:19]
	s_waitcnt lgkmcnt(0)
	v_readfirstlane_b32 s18, v4
	v_sub_u32_e32 v2, s18, v2
	v_lshl_add_u32 v2, v2, 2, -4
	ds_read_b32 v2, v2
	ds_read_u8 v11, v1 offset:2
	s_waitcnt lgkmcnt(1)
	v_add_u32_e32 v4, s26, v2
	v_add_u32_e32 v5, 2, v4
	global_load_ubyte v5, v5, s[12:13]
	s_waitcnt vmcnt(0)
	v_add_u16_e32 v12, 0xffbf, v5
	v_add_u16_e32 v13, 32, v5
	v_cmp_lt_u16_sdwa vcc, v12, v9 src0_sel:BYTE_0 src1_sel:DWORD
	v_cndmask_b32_e32 v5, v5, v13, vcc
	s_waitcnt lgkmcnt(0)
	v_cmp_eq_u16_sdwa s[18:19], v11, v5 src0_sel:DWORD src1_sel:BYTE_0
	s_and_b64 exec, exec, s[18:19]
	s_cbranch_execz .LBB1_32
; %bb.22:                               ;   in Loop: Header=BB1_9 Depth=1
	v_add_u32_e32 v5, 3, v4
	global_load_ubyte v5, v5, s[12:13]
	ds_read_u8 v11, v1 offset:3
	s_waitcnt vmcnt(0)
	v_add_u16_e32 v12, 0xffbf, v5
	v_add_u16_e32 v13, 32, v5
	v_cmp_lt_u16_sdwa vcc, v12, v9 src0_sel:BYTE_0 src1_sel:DWORD
	v_cndmask_b32_e32 v5, v5, v13, vcc
	s_waitcnt lgkmcnt(0)
	v_cmp_eq_u16_sdwa s[18:19], v11, v5 src0_sel:DWORD src1_sel:BYTE_0
	s_and_b64 exec, exec, s[18:19]
	s_cbranch_execz .LBB1_32
; %bb.23:                               ;   in Loop: Header=BB1_9 Depth=1
	v_add_u32_e32 v5, 4, v4
	global_load_ubyte v5, v5, s[12:13]
	ds_read_u8 v11, v1 offset:4
	;; [unrolled: 13-line block ×7, first 2 shown]
	s_waitcnt vmcnt(0)
	v_add_u16_e32 v11, 0xffbf, v4
	v_add_u16_e32 v12, 32, v4
	v_cmp_lt_u16_sdwa vcc, v11, v9 src0_sel:BYTE_0 src1_sel:DWORD
	v_cndmask_b32_e32 v4, v4, v12, vcc
	s_waitcnt lgkmcnt(0)
	v_cmp_eq_u16_sdwa s[18:19], v5, v4 src0_sel:DWORD src1_sel:BYTE_0
	s_and_b64 exec, exec, s[18:19]
	s_cbranch_execz .LBB1_32
; %bb.29:                               ;   in Loop: Header=BB1_9 Depth=1
	s_mov_b64 s[20:21], exec
	v_mbcnt_lo_u32_b32 v4, s20, 0
	v_mbcnt_hi_u32_b32 v4, s21, v4
	v_cmp_eq_u32_e32 vcc, 0, v4
                                        ; implicit-def: $vgpr5
	s_and_saveexec_b64 s[18:19], vcc
	s_cbranch_execz .LBB1_31
; %bb.30:                               ;   in Loop: Header=BB1_9 Depth=1
	s_bcnt1_i32_b64 s20, s[20:21]
	v_mov_b32_e32 v5, s20
	ds_add_rtn_u32 v5, v3, v5 offset:4100
.LBB1_31:                               ;   in Loop: Header=BB1_9 Depth=1
	s_or_b64 exec, exec, s[18:19]
	s_waitcnt lgkmcnt(0)
	v_readfirstlane_b32 s18, v5
	v_add_lshl_u32 v4, s18, v4, 2
	ds_write_b32 v4, v2 offset:2048
.LBB1_32:                               ;   in Loop: Header=BB1_9 Depth=1
	s_or_b64 exec, exec, s[16:17]
	s_waitcnt lgkmcnt(0)
	s_barrier
	ds_read_b32 v2, v3 offset:4100
	s_waitcnt lgkmcnt(0)
	s_barrier
	v_cmp_le_u32_e32 vcc, s27, v2
	s_cbranch_vccnz .LBB1_34
; %bb.33:                               ;   in Loop: Header=BB1_9 Depth=1
	v_sub_u32_e32 v5, 0, v10
	v_max_i32_e32 v5, v10, v5
	v_mul_hi_u32 v11, v5, v8
	v_mul_lo_u32 v11, v11, s27
	v_sub_u32_e32 v5, v5, v11
	v_subrev_u32_e32 v11, s27, v5
	v_cmp_le_u32_e32 vcc, s27, v5
	v_cndmask_b32_e32 v5, v5, v11, vcc
	v_subrev_u32_e32 v11, s27, v5
	v_cmp_le_u32_e32 vcc, s27, v5
	v_ashrrev_i32_e32 v4, 31, v10
	v_cndmask_b32_e32 v5, v5, v11, vcc
	v_xor_b32_e32 v5, v5, v4
	v_sub_u32_e32 v4, v4, v5
	v_add_u32_e32 v4, v10, v4
	v_cmp_le_u32_e32 vcc, s28, v4
	s_orn2_b64 s[16:17], vcc, exec
	s_branch .LBB1_35
.LBB1_34:                               ;   in Loop: Header=BB1_9 Depth=1
	s_mov_b64 s[16:17], -1
.LBB1_35:                               ;   in Loop: Header=BB1_9 Depth=1
	s_and_b64 s[16:17], exec, s[16:17]
	s_or_b64 s[14:15], s[16:17], s[14:15]
	s_mov_b64 s[16:17], 0
	s_andn2_b64 exec, exec, s[14:15]
	s_cbranch_execnz .LBB1_9
; %bb.36:                               ;   in Loop: Header=BB1_9 Depth=1
	s_or_b64 exec, exec, s[14:15]
	v_cmp_lt_u32_e32 vcc, v0, v2
	s_and_saveexec_b64 s[14:15], vcc
	s_cbranch_execz .LBB1_8
; %bb.37:                               ;   in Loop: Header=BB1_9 Depth=1
	s_mov_b64 s[18:19], exec
	v_mbcnt_lo_u32_b32 v2, s18, 0
	v_mbcnt_hi_u32_b32 v2, s19, v2
	v_cmp_eq_u32_e32 vcc, 0, v2
                                        ; implicit-def: $vgpr4
	s_and_saveexec_b64 s[16:17], vcc
	s_cbranch_execz .LBB1_39
; %bb.38:                               ;   in Loop: Header=BB1_9 Depth=1
	s_bcnt1_i32_b64 s18, s[18:19]
	s_sub_i32 s18, 0, s18
	v_mov_b32_e32 v4, s18
	ds_add_rtn_u32 v4, v3, v4 offset:4100
.LBB1_39:                               ;   in Loop: Header=BB1_9 Depth=1
	s_or_b64 exec, exec, s[16:17]
	s_waitcnt lgkmcnt(0)
	v_readfirstlane_b32 s16, v4
	v_sub_u32_e32 v2, s16, v2
	v_lshlrev_b32_e32 v2, 2, v2
	ds_read_b32 v2, v2 offset:2044
	s_and_b64 vcc, exec, s[2:3]
	v_mov_b32_e32 v4, 1
	s_cbranch_vccnz .LBB1_50
; %bb.40:                               ;   in Loop: Header=BB1_9 Depth=1
	s_waitcnt lgkmcnt(0)
	v_ashrrev_i32_e32 v5, 31, v2
	v_mov_b32_e32 v11, s31
	v_add_co_u32_e32 v4, vcc, s30, v2
	v_addc_co_u32_e32 v5, vcc, v11, v5, vcc
	global_load_ubyte v11, v[4:5], off
	ds_read_u8 v12, v1 offset:10
	s_mov_b64 s[18:19], 0
	s_waitcnt vmcnt(0)
	v_add_u16_e32 v13, 0xffbf, v11
	v_add_u16_e32 v14, 32, v11
	v_cmp_lt_u16_sdwa vcc, v13, v9 src0_sel:BYTE_0 src1_sel:DWORD
	v_cndmask_b32_e32 v11, v11, v14, vcc
	s_waitcnt lgkmcnt(0)
	v_cmp_eq_u16_sdwa s[20:21], v11, v12 src0_sel:BYTE_0 src1_sel:DWORD
	s_and_saveexec_b64 s[16:17], s[20:21]
	s_cbranch_execz .LBB1_49
; %bb.41:                               ;   in Loop: Header=BB1_9 Depth=1
	v_add_co_u32_e32 v4, vcc, 1, v4
	v_addc_co_u32_e32 v5, vcc, 0, v5, vcc
	s_mov_b32 s33, 11
                                        ; implicit-def: $sgpr20_sgpr21
                                        ; implicit-def: $sgpr22_sgpr23
	s_branch .LBB1_44
.LBB1_42:                               ;   in Loop: Header=BB1_44 Depth=2
	global_load_ubyte v11, v[4:5], off
	s_add_i32 s35, s33, 0x100c
	v_mov_b32_e32 v12, s35
	ds_read_u8 v12, v12
	v_add_co_u32_e32 v4, vcc, 1, v4
	v_addc_co_u32_e32 v5, vcc, 0, v5, vcc
	s_andn2_b64 s[22:23], s[22:23], exec
	s_add_i32 s34, s33, 1
	s_mov_b64 s[24:25], 0
	s_waitcnt vmcnt(0)
	v_add_u16_e32 v13, 0xffbf, v11
	v_add_u16_e32 v14, 32, v11
	v_cmp_lt_u16_sdwa vcc, v13, v9 src0_sel:BYTE_0 src1_sel:DWORD
	v_cndmask_b32_e32 v11, v11, v14, vcc
	s_waitcnt lgkmcnt(0)
	v_cmp_ne_u16_sdwa s[36:37], v11, v12 src0_sel:BYTE_0 src1_sel:DWORD
	s_and_b64 s[36:37], s[36:37], exec
	s_or_b64 s[22:23], s[22:23], s[36:37]
.LBB1_43:                               ;   in Loop: Header=BB1_44 Depth=2
	s_and_b64 s[36:37], exec, s[22:23]
	s_or_b64 s[18:19], s[36:37], s[18:19]
	s_andn2_b64 s[20:21], s[20:21], exec
	s_and_b64 s[24:25], s[24:25], exec
	v_mov_b32_e32 v11, s29
	v_mov_b32_e32 v12, s33
	s_or_b64 s[20:21], s[20:21], s[24:25]
	s_mov_b32 s33, s34
	s_andn2_b64 exec, exec, s[18:19]
	s_cbranch_execz .LBB1_46
.LBB1_44:                               ;   Parent Loop BB1_9 Depth=1
                                        ; =>  This Inner Loop Header: Depth=2
	s_or_b64 s[22:23], s[22:23], exec
	s_cmp_eq_u32 s7, s33
	s_cbranch_scc0 .LBB1_42
; %bb.45:                               ;   in Loop: Header=BB1_44 Depth=2
	s_mov_b64 s[24:25], -1
                                        ; implicit-def: $sgpr34
                                        ; implicit-def: $vgpr4_vgpr5
	s_branch .LBB1_43
.LBB1_46:                               ;   in Loop: Header=BB1_9 Depth=1
	s_or_b64 exec, exec, s[18:19]
	s_xor_b64 s[18:19], s[20:21], -1
	s_and_saveexec_b64 s[20:21], s[18:19]
	s_xor_b64 s[18:19], exec, s[20:21]
; %bb.47:                               ;   in Loop: Header=BB1_9 Depth=1
	v_add_u32_e32 v11, -10, v12
; %bb.48:                               ;   in Loop: Header=BB1_9 Depth=1
	s_or_b64 exec, exec, s[18:19]
	v_cmp_le_u32_e32 vcc, s29, v11
	s_and_b64 s[18:19], vcc, exec
.LBB1_49:                               ;   in Loop: Header=BB1_9 Depth=1
	s_or_b64 exec, exec, s[16:17]
	v_cndmask_b32_e64 v4, 0, 1, s[18:19]
.LBB1_50:                               ;   in Loop: Header=BB1_9 Depth=1
	v_cmp_ne_u32_e32 vcc, 0, v4
	s_and_b64 exec, exec, vcc
	s_cbranch_execz .LBB1_8
; %bb.51:                               ;   in Loop: Header=BB1_9 Depth=1
	s_mov_b64 s[18:19], exec
	v_mbcnt_lo_u32_b32 v4, s18, 0
	v_mbcnt_hi_u32_b32 v4, s19, v4
	v_cmp_eq_u32_e32 vcc, 0, v4
                                        ; implicit-def: $vgpr5
	s_and_saveexec_b64 s[16:17], vcc
	s_cbranch_execz .LBB1_7
; %bb.52:                               ;   in Loop: Header=BB1_9 Depth=1
	s_bcnt1_i32_b64 s18, s[18:19]
	v_mov_b32_e32 v5, s18
	ds_add_rtn_u32 v5, v3, v5 offset:4104
	s_branch .LBB1_7
.LBB1_53:
	s_or_b64 exec, exec, s[4:5]
	s_and_saveexec_b64 s[2:3], s[0:1]
	s_cbranch_execz .LBB1_55
; %bb.54:
	v_mov_b32_e32 v0, 0
	ds_read_b32 v1, v0 offset:4104
	s_ashr_i32 s7, s6, 31
	s_lshl_b64 s[0:1], s[6:7], 2
	s_add_u32 s0, s10, s0
	s_addc_u32 s1, s11, s1
	s_waitcnt lgkmcnt(0)
	global_store_dword v0, v1, s[0:1]
.LBB1_55:
	s_endpgm
	.section	.rodata,"a",@progbits
	.p2align	6, 0x0
	.amdhsa_kernel _Z23StringSearchLoadBalancePKhjS0_jPjS1_j
		.amdhsa_group_segment_fixed_size 4108
		.amdhsa_private_segment_fixed_size 0
		.amdhsa_kernarg_size 312
		.amdhsa_user_sgpr_count 6
		.amdhsa_user_sgpr_private_segment_buffer 1
		.amdhsa_user_sgpr_dispatch_ptr 0
		.amdhsa_user_sgpr_queue_ptr 0
		.amdhsa_user_sgpr_kernarg_segment_ptr 1
		.amdhsa_user_sgpr_dispatch_id 0
		.amdhsa_user_sgpr_flat_scratch_init 0
		.amdhsa_user_sgpr_kernarg_preload_length 0
		.amdhsa_user_sgpr_kernarg_preload_offset 0
		.amdhsa_user_sgpr_private_segment_size 0
		.amdhsa_uses_dynamic_stack 0
		.amdhsa_system_sgpr_private_segment_wavefront_offset 0
		.amdhsa_system_sgpr_workgroup_id_x 1
		.amdhsa_system_sgpr_workgroup_id_y 0
		.amdhsa_system_sgpr_workgroup_id_z 0
		.amdhsa_system_sgpr_workgroup_info 0
		.amdhsa_system_vgpr_workitem_id 0
		.amdhsa_next_free_vgpr 15
		.amdhsa_next_free_sgpr 38
		.amdhsa_accum_offset 16
		.amdhsa_reserve_vcc 1
		.amdhsa_reserve_flat_scratch 0
		.amdhsa_float_round_mode_32 0
		.amdhsa_float_round_mode_16_64 0
		.amdhsa_float_denorm_mode_32 3
		.amdhsa_float_denorm_mode_16_64 3
		.amdhsa_dx10_clamp 1
		.amdhsa_ieee_mode 1
		.amdhsa_fp16_overflow 0
		.amdhsa_tg_split 0
		.amdhsa_exception_fp_ieee_invalid_op 0
		.amdhsa_exception_fp_denorm_src 0
		.amdhsa_exception_fp_ieee_div_zero 0
		.amdhsa_exception_fp_ieee_overflow 0
		.amdhsa_exception_fp_ieee_underflow 0
		.amdhsa_exception_fp_ieee_inexact 0
		.amdhsa_exception_int_div_zero 0
	.end_amdhsa_kernel
	.text
.Lfunc_end1:
	.size	_Z23StringSearchLoadBalancePKhjS0_jPjS1_j, .Lfunc_end1-_Z23StringSearchLoadBalancePKhjS0_jPjS1_j
                                        ; -- End function
	.section	.AMDGPU.csdata,"",@progbits
; Kernel info:
; codeLenInByte = 2356
; NumSgprs: 42
; NumVgprs: 15
; NumAgprs: 0
; TotalNumVgprs: 15
; ScratchSize: 0
; MemoryBound: 0
; FloatMode: 240
; IeeeMode: 1
; LDSByteSize: 4108 bytes/workgroup (compile time only)
; SGPRBlocks: 5
; VGPRBlocks: 1
; NumSGPRsForWavesPerEU: 42
; NumVGPRsForWavesPerEU: 15
; AccumOffset: 16
; Occupancy: 8
; WaveLimiterHint : 0
; COMPUTE_PGM_RSRC2:SCRATCH_EN: 0
; COMPUTE_PGM_RSRC2:USER_SGPR: 6
; COMPUTE_PGM_RSRC2:TRAP_HANDLER: 0
; COMPUTE_PGM_RSRC2:TGID_X_EN: 1
; COMPUTE_PGM_RSRC2:TGID_Y_EN: 0
; COMPUTE_PGM_RSRC2:TGID_Z_EN: 0
; COMPUTE_PGM_RSRC2:TIDIG_COMP_CNT: 0
; COMPUTE_PGM_RSRC3_GFX90A:ACCUM_OFFSET: 3
; COMPUTE_PGM_RSRC3_GFX90A:TG_SPLIT: 0
	.text
	.p2alignl 6, 3212836864
	.fill 256, 4, 3212836864
	.type	__hip_cuid_e6c242537f564b51,@object ; @__hip_cuid_e6c242537f564b51
	.section	.bss,"aw",@nobits
	.globl	__hip_cuid_e6c242537f564b51
__hip_cuid_e6c242537f564b51:
	.byte	0                               ; 0x0
	.size	__hip_cuid_e6c242537f564b51, 1

	.ident	"AMD clang version 19.0.0git (https://github.com/RadeonOpenCompute/llvm-project roc-6.4.0 25133 c7fe45cf4b819c5991fe208aaa96edf142730f1d)"
	.section	".note.GNU-stack","",@progbits
	.addrsig
	.addrsig_sym __hip_cuid_e6c242537f564b51
	.amdgpu_metadata
---
amdhsa.kernels:
  - .agpr_count:     0
    .args:
      - .address_space:  global
        .offset:         0
        .size:           8
        .value_kind:     global_buffer
      - .offset:         8
        .size:           4
        .value_kind:     by_value
      - .address_space:  global
        .offset:         16
        .size:           8
        .value_kind:     global_buffer
      - .offset:         24
        .size:           4
        .value_kind:     by_value
      - .address_space:  global
        .offset:         32
        .size:           8
        .value_kind:     global_buffer
      - .address_space:  global
        .offset:         40
        .size:           8
        .value_kind:     global_buffer
      - .offset:         48
        .size:           4
        .value_kind:     by_value
      - .offset:         56
        .size:           4
        .value_kind:     hidden_block_count_x
      - .offset:         60
        .size:           4
        .value_kind:     hidden_block_count_y
      - .offset:         64
        .size:           4
        .value_kind:     hidden_block_count_z
      - .offset:         68
        .size:           2
        .value_kind:     hidden_group_size_x
      - .offset:         70
        .size:           2
        .value_kind:     hidden_group_size_y
      - .offset:         72
        .size:           2
        .value_kind:     hidden_group_size_z
      - .offset:         74
        .size:           2
        .value_kind:     hidden_remainder_x
      - .offset:         76
        .size:           2
        .value_kind:     hidden_remainder_y
      - .offset:         78
        .size:           2
        .value_kind:     hidden_remainder_z
      - .offset:         96
        .size:           8
        .value_kind:     hidden_global_offset_x
      - .offset:         104
        .size:           8
        .value_kind:     hidden_global_offset_y
      - .offset:         112
        .size:           8
        .value_kind:     hidden_global_offset_z
      - .offset:         120
        .size:           2
        .value_kind:     hidden_grid_dims
      - .offset:         176
        .size:           4
        .value_kind:     hidden_dynamic_lds_size
    .group_segment_fixed_size: 4
    .kernarg_segment_align: 8
    .kernarg_segment_size: 312
    .language:       OpenCL C
    .language_version:
      - 2
      - 0
    .max_flat_workgroup_size: 1024
    .name:           _Z17StringSearchNaivePKhjS0_jPjS1_j
    .private_segment_fixed_size: 0
    .sgpr_count:     36
    .sgpr_spill_count: 0
    .symbol:         _Z17StringSearchNaivePKhjS0_jPjS1_j.kd
    .uniform_work_group_size: 1
    .uses_dynamic_stack: false
    .vgpr_count:     10
    .vgpr_spill_count: 0
    .wavefront_size: 64
  - .agpr_count:     0
    .args:
      - .address_space:  global
        .offset:         0
        .size:           8
        .value_kind:     global_buffer
      - .offset:         8
        .size:           4
        .value_kind:     by_value
      - .address_space:  global
        .offset:         16
        .size:           8
        .value_kind:     global_buffer
      - .offset:         24
        .size:           4
        .value_kind:     by_value
      - .address_space:  global
        .offset:         32
        .size:           8
        .value_kind:     global_buffer
      - .address_space:  global
        .offset:         40
        .size:           8
        .value_kind:     global_buffer
      - .offset:         48
        .size:           4
        .value_kind:     by_value
      - .offset:         56
        .size:           4
        .value_kind:     hidden_block_count_x
      - .offset:         60
        .size:           4
        .value_kind:     hidden_block_count_y
      - .offset:         64
        .size:           4
        .value_kind:     hidden_block_count_z
      - .offset:         68
        .size:           2
        .value_kind:     hidden_group_size_x
      - .offset:         70
        .size:           2
        .value_kind:     hidden_group_size_y
      - .offset:         72
        .size:           2
        .value_kind:     hidden_group_size_z
      - .offset:         74
        .size:           2
        .value_kind:     hidden_remainder_x
      - .offset:         76
        .size:           2
        .value_kind:     hidden_remainder_y
      - .offset:         78
        .size:           2
        .value_kind:     hidden_remainder_z
      - .offset:         96
        .size:           8
        .value_kind:     hidden_global_offset_x
      - .offset:         104
        .size:           8
        .value_kind:     hidden_global_offset_y
      - .offset:         112
        .size:           8
        .value_kind:     hidden_global_offset_z
      - .offset:         120
        .size:           2
        .value_kind:     hidden_grid_dims
      - .offset:         176
        .size:           4
        .value_kind:     hidden_dynamic_lds_size
    .group_segment_fixed_size: 4108
    .kernarg_segment_align: 8
    .kernarg_segment_size: 312
    .language:       OpenCL C
    .language_version:
      - 2
      - 0
    .max_flat_workgroup_size: 1024
    .name:           _Z23StringSearchLoadBalancePKhjS0_jPjS1_j
    .private_segment_fixed_size: 0
    .sgpr_count:     42
    .sgpr_spill_count: 0
    .symbol:         _Z23StringSearchLoadBalancePKhjS0_jPjS1_j.kd
    .uniform_work_group_size: 1
    .uses_dynamic_stack: false
    .vgpr_count:     15
    .vgpr_spill_count: 0
    .wavefront_size: 64
amdhsa.target:   amdgcn-amd-amdhsa--gfx90a
amdhsa.version:
  - 1
  - 2
...

	.end_amdgpu_metadata
